;; amdgpu-corpus repo=ROCm/rocFFT kind=compiled arch=gfx950 opt=O3
	.text
	.amdgcn_target "amdgcn-amd-amdhsa--gfx950"
	.amdhsa_code_object_version 6
	.protected	fft_rtc_back_len3072_factors_6_4_4_4_4_2_wgs_256_tpt_256_halfLds_half_op_CI_CI_unitstride_sbrr_R2C_dirReg ; -- Begin function fft_rtc_back_len3072_factors_6_4_4_4_4_2_wgs_256_tpt_256_halfLds_half_op_CI_CI_unitstride_sbrr_R2C_dirReg
	.globl	fft_rtc_back_len3072_factors_6_4_4_4_4_2_wgs_256_tpt_256_halfLds_half_op_CI_CI_unitstride_sbrr_R2C_dirReg
	.p2align	8
	.type	fft_rtc_back_len3072_factors_6_4_4_4_4_2_wgs_256_tpt_256_halfLds_half_op_CI_CI_unitstride_sbrr_R2C_dirReg,@function
fft_rtc_back_len3072_factors_6_4_4_4_4_2_wgs_256_tpt_256_halfLds_half_op_CI_CI_unitstride_sbrr_R2C_dirReg: ; @fft_rtc_back_len3072_factors_6_4_4_4_4_2_wgs_256_tpt_256_halfLds_half_op_CI_CI_unitstride_sbrr_R2C_dirReg
; %bb.0:
	s_load_dwordx4 s[4:7], s[0:1], 0x58
	s_load_dwordx4 s[8:11], s[0:1], 0x0
	;; [unrolled: 1-line block ×3, first 2 shown]
	v_mov_b32_e32 v8, s2
	v_mov_b32_e32 v6, 0
	v_mov_b32_e32 v9, v6
	s_waitcnt lgkmcnt(0)
	v_cmp_lt_u64_e64 s[2:3], s[10:11], 2
	s_and_b64 vcc, exec, s[2:3]
	v_mov_b64_e32 v[16:17], 0
	s_cbranch_vccnz .LBB0_8
; %bb.1:
	s_load_dwordx2 s[2:3], s[0:1], 0x10
	s_add_u32 s16, s14, 8
	s_addc_u32 s17, s15, 0
	s_add_u32 s18, s12, 8
	s_addc_u32 s19, s13, 0
	s_waitcnt lgkmcnt(0)
	s_add_u32 s20, s2, 8
	v_mov_b64_e32 v[16:17], 0
	s_addc_u32 s21, s3, 0
	s_mov_b64 s[22:23], 1
	v_mov_b64_e32 v[2:3], v[16:17]
.LBB0_2:                                ; =>This Inner Loop Header: Depth=1
	s_load_dwordx2 s[24:25], s[20:21], 0x0
                                        ; implicit-def: $vgpr4_vgpr5
	s_waitcnt lgkmcnt(0)
	v_or_b32_e32 v7, s25, v9
	v_cmp_ne_u64_e32 vcc, 0, v[6:7]
	s_and_saveexec_b64 s[2:3], vcc
	s_xor_b64 s[26:27], exec, s[2:3]
	s_cbranch_execz .LBB0_4
; %bb.3:                                ;   in Loop: Header=BB0_2 Depth=1
	v_cvt_f32_u32_e32 v1, s24
	v_cvt_f32_u32_e32 v4, s25
	s_sub_u32 s2, 0, s24
	s_subb_u32 s3, 0, s25
	v_fmac_f32_e32 v1, 0x4f800000, v4
	v_rcp_f32_e32 v1, v1
	s_nop 0
	v_mul_f32_e32 v1, 0x5f7ffffc, v1
	v_mul_f32_e32 v4, 0x2f800000, v1
	v_trunc_f32_e32 v4, v4
	v_fmac_f32_e32 v1, 0xcf800000, v4
	v_cvt_u32_f32_e32 v7, v4
	v_cvt_u32_f32_e32 v1, v1
	v_mul_lo_u32 v4, s2, v7
	v_mul_hi_u32 v10, s2, v1
	v_mul_lo_u32 v5, s3, v1
	v_add_u32_e32 v10, v10, v4
	v_mul_lo_u32 v12, s2, v1
	v_add_u32_e32 v13, v10, v5
	v_mul_hi_u32 v4, v1, v12
	v_mul_hi_u32 v11, v1, v13
	v_mul_lo_u32 v10, v1, v13
	v_mov_b32_e32 v5, v6
	v_lshl_add_u64 v[4:5], v[4:5], 0, v[10:11]
	v_mul_hi_u32 v11, v7, v12
	v_mul_lo_u32 v12, v7, v12
	v_add_co_u32_e32 v4, vcc, v4, v12
	v_mul_hi_u32 v10, v7, v13
	s_nop 0
	v_addc_co_u32_e32 v4, vcc, v5, v11, vcc
	v_mov_b32_e32 v5, v6
	s_nop 0
	v_addc_co_u32_e32 v11, vcc, 0, v10, vcc
	v_mul_lo_u32 v10, v7, v13
	v_lshl_add_u64 v[4:5], v[4:5], 0, v[10:11]
	v_add_co_u32_e32 v1, vcc, v1, v4
	v_mul_lo_u32 v10, s2, v1
	s_nop 0
	v_addc_co_u32_e32 v7, vcc, v7, v5, vcc
	v_mul_lo_u32 v4, s2, v7
	v_mul_hi_u32 v5, s2, v1
	v_add_u32_e32 v4, v5, v4
	v_mul_lo_u32 v5, s3, v1
	v_add_u32_e32 v12, v4, v5
	v_mul_hi_u32 v14, v7, v10
	v_mul_lo_u32 v15, v7, v10
	v_mul_hi_u32 v5, v1, v12
	v_mul_lo_u32 v4, v1, v12
	v_mul_hi_u32 v10, v1, v10
	v_mov_b32_e32 v11, v6
	v_lshl_add_u64 v[4:5], v[10:11], 0, v[4:5]
	v_add_co_u32_e32 v4, vcc, v4, v15
	v_mul_hi_u32 v13, v7, v12
	s_nop 0
	v_addc_co_u32_e32 v4, vcc, v5, v14, vcc
	v_mul_lo_u32 v10, v7, v12
	s_nop 0
	v_addc_co_u32_e32 v11, vcc, 0, v13, vcc
	v_mov_b32_e32 v5, v6
	v_lshl_add_u64 v[4:5], v[4:5], 0, v[10:11]
	v_add_co_u32_e32 v1, vcc, v1, v4
	v_mul_hi_u32 v10, v8, v1
	s_nop 0
	v_addc_co_u32_e32 v7, vcc, v7, v5, vcc
	v_mad_u64_u32 v[4:5], s[2:3], v8, v7, 0
	v_mov_b32_e32 v11, v6
	v_lshl_add_u64 v[4:5], v[10:11], 0, v[4:5]
	v_mad_u64_u32 v[12:13], s[2:3], v9, v1, 0
	v_add_co_u32_e32 v1, vcc, v4, v12
	v_mad_u64_u32 v[10:11], s[2:3], v9, v7, 0
	s_nop 0
	v_addc_co_u32_e32 v4, vcc, v5, v13, vcc
	v_mov_b32_e32 v5, v6
	s_nop 0
	v_addc_co_u32_e32 v11, vcc, 0, v11, vcc
	v_lshl_add_u64 v[4:5], v[4:5], 0, v[10:11]
	v_mul_lo_u32 v1, s25, v4
	v_mul_lo_u32 v7, s24, v5
	v_mad_u64_u32 v[10:11], s[2:3], s24, v4, 0
	v_add3_u32 v1, v11, v7, v1
	v_sub_u32_e32 v7, v9, v1
	v_mov_b32_e32 v11, s25
	v_sub_co_u32_e32 v14, vcc, v8, v10
	v_lshl_add_u64 v[12:13], v[4:5], 0, 1
	s_nop 0
	v_subb_co_u32_e64 v7, s[2:3], v7, v11, vcc
	v_subrev_co_u32_e64 v10, s[2:3], s24, v14
	v_subb_co_u32_e32 v1, vcc, v9, v1, vcc
	s_nop 0
	v_subbrev_co_u32_e64 v7, s[2:3], 0, v7, s[2:3]
	v_cmp_le_u32_e64 s[2:3], s25, v7
	v_cmp_le_u32_e32 vcc, s25, v1
	s_nop 0
	v_cndmask_b32_e64 v11, 0, -1, s[2:3]
	v_cmp_le_u32_e64 s[2:3], s24, v10
	s_nop 1
	v_cndmask_b32_e64 v10, 0, -1, s[2:3]
	v_cmp_eq_u32_e64 s[2:3], s25, v7
	s_nop 1
	v_cndmask_b32_e64 v7, v11, v10, s[2:3]
	v_lshl_add_u64 v[10:11], v[4:5], 0, 2
	v_cmp_ne_u32_e64 s[2:3], 0, v7
	s_nop 1
	v_cndmask_b32_e64 v7, v13, v11, s[2:3]
	v_cndmask_b32_e64 v11, 0, -1, vcc
	v_cmp_le_u32_e32 vcc, s24, v14
	s_nop 1
	v_cndmask_b32_e64 v13, 0, -1, vcc
	v_cmp_eq_u32_e32 vcc, s25, v1
	s_nop 1
	v_cndmask_b32_e32 v1, v11, v13, vcc
	v_cmp_ne_u32_e32 vcc, 0, v1
	v_cndmask_b32_e64 v1, v12, v10, s[2:3]
	s_nop 0
	v_cndmask_b32_e32 v5, v5, v7, vcc
	v_cndmask_b32_e32 v4, v4, v1, vcc
.LBB0_4:                                ;   in Loop: Header=BB0_2 Depth=1
	s_andn2_saveexec_b64 s[2:3], s[26:27]
	s_cbranch_execz .LBB0_6
; %bb.5:                                ;   in Loop: Header=BB0_2 Depth=1
	v_cvt_f32_u32_e32 v1, s24
	s_sub_i32 s26, 0, s24
	v_rcp_iflag_f32_e32 v1, v1
	s_nop 0
	v_mul_f32_e32 v1, 0x4f7ffffe, v1
	v_cvt_u32_f32_e32 v1, v1
	v_mul_lo_u32 v4, s26, v1
	v_mul_hi_u32 v4, v1, v4
	v_add_u32_e32 v1, v1, v4
	v_mul_hi_u32 v1, v8, v1
	v_mul_lo_u32 v4, v1, s24
	v_sub_u32_e32 v4, v8, v4
	v_add_u32_e32 v5, 1, v1
	v_subrev_u32_e32 v7, s24, v4
	v_cmp_le_u32_e32 vcc, s24, v4
	s_nop 1
	v_cndmask_b32_e32 v4, v4, v7, vcc
	v_cndmask_b32_e32 v1, v1, v5, vcc
	v_add_u32_e32 v5, 1, v1
	v_cmp_le_u32_e32 vcc, s24, v4
	s_nop 1
	v_cndmask_b32_e32 v4, v1, v5, vcc
	v_mov_b32_e32 v5, v6
.LBB0_6:                                ;   in Loop: Header=BB0_2 Depth=1
	s_or_b64 exec, exec, s[2:3]
	v_mad_u64_u32 v[10:11], s[2:3], v4, s24, 0
	s_load_dwordx2 s[2:3], s[18:19], 0x0
	v_mul_lo_u32 v1, v5, s24
	v_mul_lo_u32 v7, v4, s25
	s_load_dwordx2 s[24:25], s[16:17], 0x0
	s_add_u32 s22, s22, 1
	v_add3_u32 v1, v11, v7, v1
	v_sub_co_u32_e32 v7, vcc, v8, v10
	s_addc_u32 s23, s23, 0
	s_nop 0
	v_subb_co_u32_e32 v1, vcc, v9, v1, vcc
	s_add_u32 s16, s16, 8
	s_waitcnt lgkmcnt(0)
	v_mul_lo_u32 v8, s2, v1
	v_mul_lo_u32 v9, s3, v7
	v_mad_u64_u32 v[16:17], s[2:3], s2, v7, v[16:17]
	s_addc_u32 s17, s17, 0
	v_add3_u32 v17, v9, v17, v8
	v_mul_lo_u32 v1, s24, v1
	v_mul_lo_u32 v8, s25, v7
	v_mad_u64_u32 v[2:3], s[2:3], s24, v7, v[2:3]
	s_add_u32 s18, s18, 8
	v_add3_u32 v3, v8, v3, v1
	s_addc_u32 s19, s19, 0
	v_mov_b64_e32 v[8:9], s[10:11]
	s_add_u32 s20, s20, 8
	v_cmp_ge_u64_e32 vcc, s[22:23], v[8:9]
	s_addc_u32 s21, s21, 0
	s_cbranch_vccnz .LBB0_9
; %bb.7:                                ;   in Loop: Header=BB0_2 Depth=1
	v_mov_b64_e32 v[8:9], v[4:5]
	s_branch .LBB0_2
.LBB0_8:
	v_mov_b64_e32 v[2:3], v[16:17]
	v_mov_b64_e32 v[4:5], v[8:9]
.LBB0_9:
	s_load_dwordx2 s[0:1], s[0:1], 0x28
	s_lshl_b64 s[10:11], s[10:11], 3
	s_add_u32 s2, s14, s10
	s_addc_u32 s3, s15, s11
                                        ; implicit-def: $vgpr14
                                        ; implicit-def: $vgpr10
                                        ; implicit-def: $vgpr12
                                        ; implicit-def: $vgpr8
                                        ; implicit-def: $vgpr6
	s_waitcnt lgkmcnt(0)
	v_cmp_gt_u64_e32 vcc, s[0:1], v[4:5]
	v_cmp_le_u64_e64 s[0:1], s[0:1], v[4:5]
	s_and_saveexec_b64 s[14:15], s[0:1]
	s_xor_b64 s[0:1], exec, s[14:15]
; %bb.10:
	v_mov_b32_e32 v1, 0
	v_or_b32_e32 v14, 0x100, v0
	v_or_b32_e32 v10, 0x300, v0
	;; [unrolled: 1-line block ×5, first 2 shown]
	v_mov_b32_e32 v15, v1
	v_mov_b32_e32 v13, v1
	;; [unrolled: 1-line block ×5, first 2 shown]
                                        ; implicit-def: $vgpr16_vgpr17
; %bb.11:
	s_andn2_saveexec_b64 s[0:1], s[0:1]
	s_cbranch_execz .LBB0_13
; %bb.12:
	s_add_u32 s10, s12, s10
	s_addc_u32 s11, s13, s11
	s_load_dwordx2 s[10:11], s[10:11], 0x0
	v_mov_b32_e32 v1, 0
	v_or_b32_e32 v10, 0x300, v0
	v_lshlrev_b32_e32 v18, 2, v10
	v_mov_b32_e32 v19, v1
	s_waitcnt lgkmcnt(0)
	v_mul_lo_u32 v8, s11, v4
	v_mul_lo_u32 v9, s10, v5
	v_mad_u64_u32 v[6:7], s[10:11], s10, v4, 0
	v_add3_u32 v7, v7, v9, v8
	v_lshl_add_u64 v[6:7], v[6:7], 2, s[4:5]
	v_or_b32_e32 v8, 0x400, v0
	v_lshl_add_u64 v[12:13], v[16:17], 2, v[6:7]
	v_lshlrev_b32_e32 v6, 2, v8
	v_mov_b32_e32 v7, v1
	v_lshlrev_b32_e32 v16, 2, v0
	v_mov_b32_e32 v17, v1
	v_lshl_add_u64 v[22:23], v[12:13], 0, v[6:7]
	v_or_b32_e32 v6, 0x500, v0
	v_lshl_add_u64 v[14:15], v[12:13], 0, v[16:17]
	v_lshlrev_b32_e32 v24, 2, v6
	v_mov_b32_e32 v25, v1
	v_or_b32_e32 v26, 0x1800, v16
	v_mov_b32_e32 v27, v1
	v_or_b32_e32 v28, 0x1c00, v16
	v_mov_b32_e32 v29, v1
	v_lshl_add_u64 v[20:21], v[12:13], 0, v[18:19]
	v_lshl_add_u64 v[24:25], v[12:13], 0, v[24:25]
	;; [unrolled: 1-line block ×4, first 2 shown]
	global_load_dword v17, v[14:15], off
	global_load_dword v19, v[14:15], off offset:1024
	global_load_dword v29, v[14:15], off offset:2048
	global_load_dword v32, v[20:21], off
	global_load_dword v33, v[22:23], off
	;; [unrolled: 1-line block ×5, first 2 shown]
	v_or_b32_e32 v14, 0x2000, v16
	v_mov_b32_e32 v15, v1
	v_lshl_add_u64 v[14:15], v[12:13], 0, v[14:15]
	v_or_b32_e32 v20, 0x2400, v16
	v_mov_b32_e32 v21, v1
	v_or_b32_e32 v22, 0x2800, v16
	v_mov_b32_e32 v23, v1
	;; [unrolled: 2-line block ×3, first 2 shown]
	v_lshl_add_u64 v[20:21], v[12:13], 0, v[20:21]
	v_lshl_add_u64 v[22:23], v[12:13], 0, v[22:23]
	;; [unrolled: 1-line block ×3, first 2 shown]
	global_load_dword v25, v[14:15], off
	global_load_dword v26, v[20:21], off
	;; [unrolled: 1-line block ×4, first 2 shown]
	v_or_b32_e32 v14, 0x100, v0
	v_or_b32_e32 v12, 0x200, v0
	v_add_u32_e32 v16, 0, v16
	v_mov_b32_e32 v15, v1
	v_mov_b32_e32 v13, v1
	;; [unrolled: 1-line block ×4, first 2 shown]
	v_add_u32_e32 v18, 0, v18
	v_add_u32_e32 v20, 0, v28
	;; [unrolled: 1-line block ×3, first 2 shown]
	s_waitcnt vmcnt(10)
	ds_write2st64_b32 v16, v17, v19 offset1:4
	s_waitcnt vmcnt(8)
	ds_write_b32 v18, v32
	s_waitcnt vmcnt(7)
	ds_write2st64_b32 v16, v29, v33 offset0:8 offset1:16
	s_waitcnt vmcnt(5)
	ds_write2st64_b32 v16, v34, v35 offset0:20 offset1:24
	s_waitcnt vmcnt(4)
	ds_write_b32 v20, v36
	s_waitcnt vmcnt(2)
	ds_write2st64_b32 v16, v25, v26 offset0:32 offset1:36
	s_waitcnt vmcnt(1)
	ds_write_b32 v16, v27 offset:10240
	s_waitcnt vmcnt(0)
	ds_write_b32 v21, v30
.LBB0_13:
	s_or_b64 exec, exec, s[0:1]
	v_lshlrev_b32_e32 v20, 2, v0
	v_add_u32_e32 v16, 0, v20
	s_load_dwordx2 s[2:3], s[2:3], 0x0
	s_waitcnt lgkmcnt(0)
	s_barrier
	ds_read2st64_b32 v[18:19], v16 offset1:4
	ds_read2st64_b32 v[22:23], v16 offset0:8 offset1:12
	ds_read2st64_b32 v[24:25], v16 offset0:16 offset1:20
	;; [unrolled: 1-line block ×5, first 2 shown]
	s_movk_i32 s0, 0x3aee
	s_waitcnt lgkmcnt(3)
	v_pk_add_f16 v35, v18, v24
	s_waitcnt lgkmcnt(2)
	v_pk_add_f16 v38, v24, v26
	v_pk_add_f16 v24, v24, v26 neg_lo:[0,1] neg_hi:[0,1]
	v_pk_fma_f16 v18, v38, 0.5, v18 op_sel_hi:[1,0,1] neg_lo:[1,0,0] neg_hi:[1,0,0]
	v_pk_add_f16 v35, v35, v26
	v_pk_fma_f16 v26, v24, s0, v18 op_sel:[0,0,1] op_sel_hi:[1,0,0] neg_lo:[1,0,0] neg_hi:[1,0,0]
	v_pk_fma_f16 v18, v24, s0, v18 op_sel:[0,0,1] op_sel_hi:[1,0,0]
	s_waitcnt lgkmcnt(0)
	v_pk_add_f16 v24, v28, v30
	v_pk_add_f16 v36, v22, v28
	v_pk_fma_f16 v22, v24, 0.5, v22 op_sel_hi:[1,0,1] neg_lo:[1,0,0] neg_hi:[1,0,0]
	v_pk_add_f16 v24, v28, v30 neg_lo:[0,1] neg_hi:[0,1]
	s_mov_b32 s1, 0xb8003800
	v_pk_fma_f16 v28, v24, s0, v22 op_sel:[0,0,1] op_sel_hi:[1,0,0]
	v_pk_fma_f16 v22, v24, s0, v22 op_sel:[0,0,1] op_sel_hi:[1,0,0] neg_lo:[1,0,0] neg_hi:[1,0,0]
	v_pk_add_f16 v36, v36, v30
	v_pk_mul_f16 v38, v22, s0 op_sel_hi:[1,0]
	v_lshrrev_b32_e32 v24, 16, v22
	v_mul_f16_e32 v30, 0x3aee, v28
	v_pk_fma_f16 v39, v28, s1, v38 op_sel:[0,0,1] op_sel_hi:[1,1,0]
	v_pk_fma_f16 v38, v28, s1, v38 op_sel:[0,0,1] op_sel_hi:[1,1,0] neg_lo:[0,0,1] neg_hi:[0,0,1]
	s_mov_b32 s10, 0xffff
	v_lshrrev_b32_e32 v28, 16, v28
	v_mul_f16_e32 v22, -0.5, v22
	v_fma_f16 v24, v24, 0.5, -v30
	v_bfi_b32 v40, s10, v39, v38
	v_fma_f16 v22, v28, s0, v22
	v_add_f16_sdwa v30, v26, v24 dst_sel:DWORD dst_unused:UNUSED_PAD src0_sel:WORD_1 src1_sel:DWORD
	v_pk_add_f16 v40, v18, v40
	v_add_f16_e32 v28, v26, v22
	v_mad_u32_u24 v21, v0, 20, v16
	v_alignbit_b32 v28, v28, v40, 16
	v_pack_b32_f16 v30, v30, v40
	s_barrier
	ds_write2_b32 v21, v30, v28 offset0:1 offset1:2
	v_alignbit_b32 v30, v18, v26, 16
	v_alignbit_b32 v18, v26, v18, 16
	;; [unrolled: 1-line block ×3, first 2 shown]
	v_pk_add_f16 v37, v35, v36
	v_pk_add_f16 v18, v18, v22 neg_lo:[0,1] neg_hi:[0,1]
	v_pack_b32_f16 v24, v24, v39
	ds_write2_b32 v21, v37, v18 offset1:5
	v_pk_add_f16 v18, v25, v27
	v_pk_add_f16 v32, v19, v25
	v_pk_add_f16 v28, v35, v36 neg_lo:[0,1] neg_hi:[0,1]
	v_pk_add_f16 v24, v30, v24 neg_lo:[0,1] neg_hi:[0,1]
	v_pk_fma_f16 v18, v18, 0.5, v19 op_sel_hi:[1,0,1] neg_lo:[1,0,0] neg_hi:[1,0,0]
	v_pk_add_f16 v19, v25, v27 neg_lo:[0,1] neg_hi:[0,1]
	ds_write2_b32 v21, v28, v24 offset0:3 offset1:4
	v_pk_fma_f16 v21, v19, s0, v18 op_sel:[0,0,1] op_sel_hi:[1,0,0] neg_lo:[1,0,0] neg_hi:[1,0,0]
	v_pk_fma_f16 v18, v19, s0, v18 op_sel:[0,0,1] op_sel_hi:[1,0,0]
	v_pk_add_f16 v19, v29, v31
	v_pk_add_f16 v22, v29, v31 neg_lo:[0,1] neg_hi:[0,1]
	v_pk_fma_f16 v19, v19, 0.5, v23 op_sel_hi:[1,0,1] neg_lo:[1,0,0] neg_hi:[1,0,0]
	v_pk_add_f16 v33, v23, v29
	v_pk_fma_f16 v23, v22, s0, v19 op_sel:[0,0,1] op_sel_hi:[1,0,0]
	v_pk_fma_f16 v19, v22, s0, v19 op_sel:[0,0,1] op_sel_hi:[1,0,0] neg_lo:[1,0,0] neg_hi:[1,0,0]
	v_mul_f16_e32 v24, 0x3aee, v23
	v_pk_mul_f16 v25, v19, s0 op_sel_hi:[1,0]
	v_lshrrev_b32_e32 v22, 16, v19
	v_pk_fma_f16 v26, v23, s1, v25 op_sel:[0,0,1] op_sel_hi:[1,1,0]
	v_pk_fma_f16 v25, v23, s1, v25 op_sel:[0,0,1] op_sel_hi:[1,1,0] neg_lo:[0,0,1] neg_hi:[0,0,1]
	v_lshrrev_b32_e32 v23, 16, v23
	v_mul_f16_e32 v19, -0.5, v19
	v_pk_add_f16 v32, v32, v27
	v_fma_f16 v22, v22, 0.5, -v24
	v_bfi_b32 v27, s10, v26, v25
	v_fma_f16 v19, v23, s0, v19
	v_mul_i32_i24_e32 v17, 6, v14
	v_add_f16_sdwa v24, v21, v22 dst_sel:DWORD dst_unused:UNUSED_PAD src0_sel:WORD_1 src1_sel:DWORD
	v_pk_add_f16 v27, v18, v27
	v_add_f16_e32 v23, v21, v19
	v_lshl_add_u32 v17, v17, 2, 0
	v_alignbit_b32 v23, v23, v27, 16
	v_pack_b32_f16 v24, v24, v27
	v_pk_add_f16 v33, v33, v31
	ds_write2_b32 v17, v24, v23 offset0:1 offset1:2
	v_alignbit_b32 v24, v18, v21, 16
	v_alignbit_b32 v18, v21, v18, 16
	;; [unrolled: 1-line block ×3, first 2 shown]
	v_mul_lo_u16_e32 v25, 0xab, v0
	v_pk_add_f16 v34, v32, v33
	v_pk_add_f16 v18, v18, v19 neg_lo:[0,1] neg_hi:[0,1]
	v_lshrrev_b16_e32 v29, 10, v25
	ds_write2_b32 v17, v34, v18 offset1:5
	v_mul_lo_u16_e32 v18, 6, v29
	v_pk_add_f16 v23, v32, v33 neg_lo:[0,1] neg_hi:[0,1]
	v_sub_u16_e32 v33, v0, v18
	v_mov_b32_e32 v42, 3
	v_pack_b32_f16 v22, v22, v26
	v_mul_u32_u24_sdwa v18, v33, v42 dst_sel:DWORD dst_unused:UNUSED_PAD src0_sel:BYTE_0 src1_sel:DWORD
	v_pk_add_f16 v22, v24, v22 neg_lo:[0,1] neg_hi:[0,1]
	v_lshlrev_b32_e32 v18, 2, v18
	ds_write2_b32 v17, v23, v22 offset0:3 offset1:4
	s_waitcnt lgkmcnt(0)
	s_barrier
	global_load_dwordx3 v[22:24], v18, s[8:9]
	s_mov_b32 s0, 0xaaab
	v_mul_u32_u24_sdwa v43, v14, s0 dst_sel:DWORD dst_unused:UNUSED_PAD src0_sel:WORD_0 src1_sel:DWORD
	v_lshrrev_b32_e32 v44, 18, v43
	v_mul_lo_u16_e32 v18, 6, v44
	v_sub_u16_e32 v45, v14, v18
	v_mul_lo_u16_e32 v18, 3, v45
	v_lshlrev_b32_e32 v18, 2, v18
	global_load_dwordx3 v[26:28], v18, s[8:9]
	v_mul_u32_u24_sdwa v46, v12, s0 dst_sel:DWORD dst_unused:UNUSED_PAD src0_sel:WORD_0 src1_sel:DWORD
	v_lshrrev_b32_e32 v47, 18, v46
	v_mul_lo_u16_e32 v18, 6, v47
	v_sub_u16_e32 v48, v12, v18
	v_mul_lo_u16_e32 v18, 3, v48
	v_lshlrev_b32_e32 v18, 2, v18
	global_load_dwordx3 v[30:32], v18, s[8:9]
	s_movk_i32 s0, 0xffec
	v_mad_i32_i24 v21, v14, s0, v17
	v_lshl_add_u32 v18, v10, 2, 0
	ds_read2st64_b32 v[34:35], v16 offset0:20 offset1:24
	ds_read2st64_b32 v[36:37], v16 offset0:36 offset1:40
	ds_read2st64_b32 v[38:39], v16 offset0:28 offset1:32
	v_lshl_add_u32 v19, v12, 2, 0
	ds_read_b32 v49, v21
	ds_read_b32 v50, v19
	;; [unrolled: 1-line block ×3, first 2 shown]
	ds_read_b32 v52, v16 offset:11264
	ds_read2st64_b32 v[40:41], v16 offset1:16
	s_waitcnt lgkmcnt(7)
	v_lshrrev_b32_e32 v54, 16, v34
	s_waitcnt lgkmcnt(6)
	v_lshrrev_b32_e32 v53, 16, v37
	;; [unrolled: 2-line block ×3, first 2 shown]
	v_lshrrev_b32_e32 v55, 16, v39
	s_waitcnt lgkmcnt(1)
	v_lshrrev_b32_e32 v56, 16, v52
	v_mul_u32_u24_e32 v29, 24, v29
	v_or_b32_sdwa v29, v29, v33 dst_sel:DWORD dst_unused:UNUSED_PAD src0_sel:DWORD src1_sel:BYTE_0
	v_lshl_add_u32 v29, v29, 2, 0
	s_waitcnt lgkmcnt(0)
	s_barrier
	s_movk_i32 s0, 0x180
	v_cmp_gt_u32_e64 s[0:1], s0, v14
	s_movk_i32 s4, 0x1000
	v_sub_u32_e32 v20, 0, v20
	s_waitcnt vmcnt(2)
	v_mul_f16_sdwa v58, v22, v57 dst_sel:DWORD dst_unused:UNUSED_PAD src0_sel:WORD_1 src1_sel:DWORD
	v_fma_f16 v58, v22, v51, v58
	v_mul_f16_sdwa v51, v22, v51 dst_sel:DWORD dst_unused:UNUSED_PAD src0_sel:WORD_1 src1_sel:DWORD
	v_fma_f16 v22, v22, v57, -v51
	v_lshrrev_b32_e32 v51, 16, v35
	v_mul_f16_sdwa v57, v23, v51 dst_sel:DWORD dst_unused:UNUSED_PAD src0_sel:WORD_1 src1_sel:DWORD
	v_fma_f16 v57, v23, v35, v57
	v_mul_f16_sdwa v35, v23, v35 dst_sel:DWORD dst_unused:UNUSED_PAD src0_sel:WORD_1 src1_sel:DWORD
	v_fma_f16 v23, v23, v51, -v35
	v_lshrrev_b32_e32 v35, 16, v36
	v_mul_f16_sdwa v51, v24, v35 dst_sel:DWORD dst_unused:UNUSED_PAD src0_sel:WORD_1 src1_sel:DWORD
	v_fma_f16 v51, v24, v36, v51
	v_mul_f16_sdwa v36, v24, v36 dst_sel:DWORD dst_unused:UNUSED_PAD src0_sel:WORD_1 src1_sel:DWORD
	v_fma_f16 v24, v24, v35, -v36
	v_lshrrev_b32_e32 v35, 16, v41
	s_waitcnt vmcnt(1)
	v_mul_f16_sdwa v36, v26, v35 dst_sel:DWORD dst_unused:UNUSED_PAD src0_sel:WORD_1 src1_sel:DWORD
	v_fma_f16 v36, v26, v41, v36
	v_mul_f16_sdwa v41, v26, v41 dst_sel:DWORD dst_unused:UNUSED_PAD src0_sel:WORD_1 src1_sel:DWORD
	v_fma_f16 v26, v26, v35, -v41
	v_lshrrev_b32_e32 v35, 16, v38
	v_mul_f16_sdwa v41, v27, v35 dst_sel:DWORD dst_unused:UNUSED_PAD src0_sel:WORD_1 src1_sel:DWORD
	v_fma_f16 v41, v27, v38, v41
	v_mul_f16_sdwa v38, v27, v38 dst_sel:DWORD dst_unused:UNUSED_PAD src0_sel:WORD_1 src1_sel:DWORD
	v_fma_f16 v27, v27, v35, -v38
	v_mul_f16_sdwa v35, v53, v28 dst_sel:DWORD dst_unused:UNUSED_PAD src0_sel:DWORD src1_sel:WORD_1
	v_fma_f16 v35, v37, v28, v35
	v_mul_f16_sdwa v37, v37, v28 dst_sel:DWORD dst_unused:UNUSED_PAD src0_sel:DWORD src1_sel:WORD_1
	v_fma_f16 v28, v53, v28, -v37
	s_waitcnt vmcnt(0)
	v_mul_f16_sdwa v37, v54, v30 dst_sel:DWORD dst_unused:UNUSED_PAD src0_sel:DWORD src1_sel:WORD_1
	v_fma_f16 v37, v34, v30, v37
	v_mul_f16_sdwa v34, v34, v30 dst_sel:DWORD dst_unused:UNUSED_PAD src0_sel:DWORD src1_sel:WORD_1
	v_fma_f16 v30, v54, v30, -v34
	v_mul_f16_sdwa v34, v55, v31 dst_sel:DWORD dst_unused:UNUSED_PAD src0_sel:DWORD src1_sel:WORD_1
	v_mul_f16_sdwa v38, v39, v31 dst_sel:DWORD dst_unused:UNUSED_PAD src0_sel:DWORD src1_sel:WORD_1
	v_fma_f16 v34, v39, v31, v34
	v_fma_f16 v31, v55, v31, -v38
	v_mul_f16_sdwa v38, v56, v32 dst_sel:DWORD dst_unused:UNUSED_PAD src0_sel:DWORD src1_sel:WORD_1
	v_mul_f16_sdwa v39, v52, v32 dst_sel:DWORD dst_unused:UNUSED_PAD src0_sel:DWORD src1_sel:WORD_1
	v_fma_f16 v38, v52, v32, v38
	v_fma_f16 v32, v56, v32, -v39
	v_lshrrev_b32_e32 v39, 16, v40
	v_sub_f16_e32 v52, v40, v57
	v_sub_f16_e32 v23, v39, v23
	;; [unrolled: 1-line block ×4, first 2 shown]
	v_fma_f16 v40, v40, 2.0, -v52
	v_fma_f16 v39, v39, 2.0, -v23
	;; [unrolled: 1-line block ×4, first 2 shown]
	v_sub_f16_e32 v53, v40, v53
	v_sub_f16_e32 v22, v39, v22
	v_add_f16_e32 v24, v52, v24
	v_sub_f16_e32 v51, v23, v51
	v_fma_f16 v40, v40, 2.0, -v53
	v_fma_f16 v39, v39, 2.0, -v22
	;; [unrolled: 1-line block ×4, first 2 shown]
	v_lshrrev_b32_e32 v54, 16, v49
	v_pack_b32_f16 v33, v40, v39
	v_pack_b32_f16 v23, v52, v23
	v_sub_f16_e32 v41, v49, v41
	v_sub_f16_e32 v27, v54, v27
	;; [unrolled: 1-line block ×4, first 2 shown]
	ds_write2_b32 v29, v33, v23 offset1:6
	v_pack_b32_f16 v22, v53, v22
	v_pack_b32_f16 v23, v24, v51
	v_fma_f16 v49, v49, 2.0, -v41
	v_fma_f16 v54, v54, 2.0, -v27
	;; [unrolled: 1-line block ×4, first 2 shown]
	ds_write2_b32 v29, v22, v23 offset0:12 offset1:18
	v_mul_lo_u16_e32 v22, 24, v44
	v_sub_f16_e32 v36, v49, v36
	v_sub_f16_e32 v26, v54, v26
	v_add_f16_e32 v28, v41, v28
	v_sub_f16_e32 v35, v27, v35
	v_or_b32_e32 v22, v22, v45
	v_fma_f16 v49, v49, 2.0, -v36
	v_fma_f16 v54, v54, 2.0, -v26
	;; [unrolled: 1-line block ×4, first 2 shown]
	v_and_b32_e32 v22, 0xffff, v22
	v_lshrrev_b32_e32 v55, 16, v50
	v_lshl_add_u32 v22, v22, 2, 0
	v_pack_b32_f16 v23, v49, v54
	v_pack_b32_f16 v24, v41, v27
	v_sub_f16_e32 v34, v50, v34
	v_sub_f16_e32 v31, v55, v31
	;; [unrolled: 1-line block ×4, first 2 shown]
	ds_write2_b32 v22, v23, v24 offset1:6
	v_pack_b32_f16 v23, v36, v26
	v_pack_b32_f16 v24, v28, v35
	v_fma_f16 v50, v50, 2.0, -v34
	v_fma_f16 v55, v55, 2.0, -v31
	;; [unrolled: 1-line block ×4, first 2 shown]
	ds_write2_b32 v22, v23, v24 offset0:12 offset1:18
	v_mul_lo_u16_e32 v22, 24, v47
	v_sub_f16_e32 v37, v50, v37
	v_sub_f16_e32 v30, v55, v30
	v_add_f16_e32 v32, v34, v32
	v_sub_f16_e32 v38, v31, v38
	v_or_b32_e32 v22, v22, v48
	v_fma_f16 v50, v50, 2.0, -v37
	v_fma_f16 v55, v55, 2.0, -v30
	;; [unrolled: 1-line block ×4, first 2 shown]
	v_and_b32_e32 v22, 0xffff, v22
	v_lshl_add_u32 v22, v22, 2, 0
	v_pack_b32_f16 v23, v50, v55
	v_pack_b32_f16 v24, v34, v31
	ds_write2_b32 v22, v23, v24 offset1:6
	v_pack_b32_f16 v23, v37, v30
	v_pack_b32_f16 v24, v32, v38
	v_lshrrev_b16_e32 v29, 12, v25
	ds_write2_b32 v22, v23, v24 offset0:12 offset1:18
	v_mul_lo_u16_e32 v22, 24, v29
	v_sub_u16_e32 v33, v0, v22
	v_mul_u32_u24_sdwa v22, v33, v42 dst_sel:DWORD dst_unused:UNUSED_PAD src0_sel:BYTE_0 src1_sel:DWORD
	v_lshlrev_b32_e32 v22, 2, v22
	s_waitcnt lgkmcnt(0)
	s_barrier
	global_load_dwordx3 v[22:24], v22, s[8:9] offset:72
	v_lshrrev_b32_e32 v44, 20, v43
	v_mul_lo_u16_e32 v26, 24, v44
	v_sub_u16_e32 v45, v14, v26
	v_mul_lo_u16_e32 v26, 3, v45
	v_lshlrev_b32_e32 v26, 2, v26
	global_load_dwordx3 v[26:28], v26, s[8:9] offset:72
	v_lshrrev_b32_e32 v47, 20, v46
	v_mul_lo_u16_e32 v30, 24, v47
	v_sub_u16_e32 v48, v12, v30
	v_mul_lo_u16_e32 v30, 3, v48
	v_lshlrev_b32_e32 v30, 2, v30
	global_load_dwordx3 v[30:32], v30, s[8:9] offset:72
	ds_read2st64_b32 v[34:35], v16 offset0:20 offset1:24
	ds_read2st64_b32 v[36:37], v16 offset0:36 offset1:40
	;; [unrolled: 1-line block ×3, first 2 shown]
	ds_read_b32 v49, v21
	ds_read_b32 v50, v19
	;; [unrolled: 1-line block ×3, first 2 shown]
	ds_read_b32 v52, v16 offset:11264
	ds_read2st64_b32 v[40:41], v16 offset1:16
	s_waitcnt lgkmcnt(6)
	v_lshrrev_b32_e32 v53, 16, v37
	v_lshrrev_b32_e32 v54, 16, v34
	s_waitcnt lgkmcnt(2)
	v_lshrrev_b32_e32 v57, 16, v51
	v_lshrrev_b32_e32 v55, 16, v39
	s_waitcnt lgkmcnt(1)
	v_lshrrev_b32_e32 v56, 16, v52
	v_mul_u32_u24_e32 v29, 0x60, v29
	v_or_b32_sdwa v29, v29, v33 dst_sel:DWORD dst_unused:UNUSED_PAD src0_sel:DWORD src1_sel:BYTE_0
	v_lshl_add_u32 v29, v29, 2, 0
	s_waitcnt lgkmcnt(0)
	s_barrier
	v_lshrrev_b16_e32 v25, 14, v25
	s_waitcnt vmcnt(2)
	v_mul_f16_sdwa v58, v22, v57 dst_sel:DWORD dst_unused:UNUSED_PAD src0_sel:WORD_1 src1_sel:DWORD
	v_fma_f16 v58, v22, v51, v58
	v_mul_f16_sdwa v51, v22, v51 dst_sel:DWORD dst_unused:UNUSED_PAD src0_sel:WORD_1 src1_sel:DWORD
	v_fma_f16 v22, v22, v57, -v51
	v_lshrrev_b32_e32 v51, 16, v35
	v_mul_f16_sdwa v57, v23, v51 dst_sel:DWORD dst_unused:UNUSED_PAD src0_sel:WORD_1 src1_sel:DWORD
	v_fma_f16 v57, v23, v35, v57
	v_mul_f16_sdwa v35, v23, v35 dst_sel:DWORD dst_unused:UNUSED_PAD src0_sel:WORD_1 src1_sel:DWORD
	v_fma_f16 v23, v23, v51, -v35
	v_lshrrev_b32_e32 v35, 16, v36
	;; [unrolled: 5-line block ×3, first 2 shown]
	s_waitcnt vmcnt(1)
	v_mul_f16_sdwa v36, v26, v35 dst_sel:DWORD dst_unused:UNUSED_PAD src0_sel:WORD_1 src1_sel:DWORD
	v_fma_f16 v36, v26, v41, v36
	v_mul_f16_sdwa v41, v26, v41 dst_sel:DWORD dst_unused:UNUSED_PAD src0_sel:WORD_1 src1_sel:DWORD
	v_fma_f16 v26, v26, v35, -v41
	v_lshrrev_b32_e32 v35, 16, v38
	v_mul_f16_sdwa v41, v27, v35 dst_sel:DWORD dst_unused:UNUSED_PAD src0_sel:WORD_1 src1_sel:DWORD
	v_fma_f16 v41, v27, v38, v41
	v_mul_f16_sdwa v38, v27, v38 dst_sel:DWORD dst_unused:UNUSED_PAD src0_sel:WORD_1 src1_sel:DWORD
	v_fma_f16 v27, v27, v35, -v38
	v_mul_f16_sdwa v35, v53, v28 dst_sel:DWORD dst_unused:UNUSED_PAD src0_sel:DWORD src1_sel:WORD_1
	v_fma_f16 v35, v37, v28, v35
	v_mul_f16_sdwa v37, v37, v28 dst_sel:DWORD dst_unused:UNUSED_PAD src0_sel:DWORD src1_sel:WORD_1
	v_fma_f16 v28, v53, v28, -v37
	s_waitcnt vmcnt(0)
	v_mul_f16_sdwa v37, v54, v30 dst_sel:DWORD dst_unused:UNUSED_PAD src0_sel:DWORD src1_sel:WORD_1
	v_fma_f16 v37, v34, v30, v37
	v_mul_f16_sdwa v34, v34, v30 dst_sel:DWORD dst_unused:UNUSED_PAD src0_sel:DWORD src1_sel:WORD_1
	v_fma_f16 v30, v54, v30, -v34
	v_mul_f16_sdwa v34, v55, v31 dst_sel:DWORD dst_unused:UNUSED_PAD src0_sel:DWORD src1_sel:WORD_1
	v_mul_f16_sdwa v38, v39, v31 dst_sel:DWORD dst_unused:UNUSED_PAD src0_sel:DWORD src1_sel:WORD_1
	v_fma_f16 v34, v39, v31, v34
	v_fma_f16 v31, v55, v31, -v38
	v_mul_f16_sdwa v38, v56, v32 dst_sel:DWORD dst_unused:UNUSED_PAD src0_sel:DWORD src1_sel:WORD_1
	v_mul_f16_sdwa v39, v52, v32 dst_sel:DWORD dst_unused:UNUSED_PAD src0_sel:DWORD src1_sel:WORD_1
	v_fma_f16 v38, v52, v32, v38
	v_fma_f16 v32, v56, v32, -v39
	v_lshrrev_b32_e32 v39, 16, v40
	v_sub_f16_e32 v52, v40, v57
	v_sub_f16_e32 v23, v39, v23
	;; [unrolled: 1-line block ×4, first 2 shown]
	v_fma_f16 v40, v40, 2.0, -v52
	v_fma_f16 v39, v39, 2.0, -v23
	;; [unrolled: 1-line block ×4, first 2 shown]
	v_sub_f16_e32 v53, v40, v53
	v_sub_f16_e32 v22, v39, v22
	v_add_f16_e32 v24, v52, v24
	v_sub_f16_e32 v51, v23, v51
	v_fma_f16 v40, v40, 2.0, -v53
	v_fma_f16 v39, v39, 2.0, -v22
	;; [unrolled: 1-line block ×4, first 2 shown]
	v_lshrrev_b32_e32 v54, 16, v49
	v_pack_b32_f16 v33, v40, v39
	v_pack_b32_f16 v23, v52, v23
	v_sub_f16_e32 v41, v49, v41
	v_sub_f16_e32 v27, v54, v27
	;; [unrolled: 1-line block ×4, first 2 shown]
	ds_write2_b32 v29, v33, v23 offset1:24
	v_pack_b32_f16 v22, v53, v22
	v_pack_b32_f16 v23, v24, v51
	v_fma_f16 v49, v49, 2.0, -v41
	v_fma_f16 v54, v54, 2.0, -v27
	;; [unrolled: 1-line block ×4, first 2 shown]
	ds_write2_b32 v29, v22, v23 offset0:48 offset1:72
	v_mul_lo_u16_e32 v22, 0x60, v44
	v_sub_f16_e32 v36, v49, v36
	v_sub_f16_e32 v26, v54, v26
	v_add_f16_e32 v28, v41, v28
	v_sub_f16_e32 v35, v27, v35
	v_or_b32_e32 v22, v22, v45
	v_fma_f16 v49, v49, 2.0, -v36
	v_fma_f16 v54, v54, 2.0, -v26
	;; [unrolled: 1-line block ×4, first 2 shown]
	v_and_b32_e32 v22, 0xffff, v22
	v_lshrrev_b32_e32 v55, 16, v50
	v_lshl_add_u32 v22, v22, 2, 0
	v_pack_b32_f16 v23, v49, v54
	v_pack_b32_f16 v24, v41, v27
	v_sub_f16_e32 v34, v50, v34
	v_sub_f16_e32 v31, v55, v31
	;; [unrolled: 1-line block ×4, first 2 shown]
	ds_write2_b32 v22, v23, v24 offset1:24
	v_pack_b32_f16 v23, v36, v26
	v_pack_b32_f16 v24, v28, v35
	v_fma_f16 v50, v50, 2.0, -v34
	v_fma_f16 v55, v55, 2.0, -v31
	;; [unrolled: 1-line block ×4, first 2 shown]
	ds_write2_b32 v22, v23, v24 offset0:48 offset1:72
	v_mul_lo_u16_e32 v22, 0x60, v47
	v_sub_f16_e32 v37, v50, v37
	v_sub_f16_e32 v30, v55, v30
	v_add_f16_e32 v32, v34, v32
	v_sub_f16_e32 v38, v31, v38
	v_or_b32_e32 v22, v22, v48
	v_fma_f16 v50, v50, 2.0, -v37
	v_fma_f16 v55, v55, 2.0, -v30
	;; [unrolled: 1-line block ×4, first 2 shown]
	v_and_b32_e32 v22, 0xffff, v22
	v_lshl_add_u32 v22, v22, 2, 0
	v_pack_b32_f16 v23, v50, v55
	v_pack_b32_f16 v24, v34, v31
	ds_write2_b32 v22, v23, v24 offset1:24
	v_pack_b32_f16 v23, v37, v30
	v_pack_b32_f16 v24, v32, v38
	ds_write2_b32 v22, v23, v24 offset0:48 offset1:72
	v_mul_lo_u16_e32 v22, 0x60, v25
	v_sub_u16_e32 v29, v0, v22
	v_mul_u32_u24_sdwa v22, v29, v42 dst_sel:DWORD dst_unused:UNUSED_PAD src0_sel:BYTE_0 src1_sel:DWORD
	v_lshlrev_b32_e32 v22, 2, v22
	s_waitcnt lgkmcnt(0)
	s_barrier
	global_load_dwordx3 v[22:24], v22, s[8:9] offset:360
	v_lshrrev_b32_e32 v33, 22, v43
	v_mul_lo_u16_e32 v26, 0x60, v33
	v_sub_u16_e32 v42, v14, v26
	v_mul_lo_u16_e32 v26, 3, v42
	v_lshlrev_b32_e32 v26, 2, v26
	global_load_dwordx3 v[26:28], v26, s[8:9] offset:360
	v_lshrrev_b32_e32 v43, 22, v46
	v_mul_lo_u16_e32 v30, 0x60, v43
	v_sub_u16_e32 v44, v12, v30
	v_mul_lo_u16_e32 v30, 3, v44
	v_lshlrev_b32_e32 v30, 2, v30
	global_load_dwordx3 v[30:32], v30, s[8:9] offset:360
	ds_read2st64_b32 v[34:35], v16 offset0:20 offset1:24
	ds_read2st64_b32 v[36:37], v16 offset0:36 offset1:40
	ds_read2st64_b32 v[38:39], v16 offset0:28 offset1:32
	ds_read_b32 v45, v21
	ds_read_b32 v46, v19
	;; [unrolled: 1-line block ×3, first 2 shown]
	ds_read_b32 v48, v16 offset:11264
	ds_read2st64_b32 v[40:41], v16 offset1:16
	s_waitcnt lgkmcnt(6)
	v_lshrrev_b32_e32 v49, 16, v37
	v_lshrrev_b32_e32 v50, 16, v34
	s_waitcnt lgkmcnt(2)
	v_lshrrev_b32_e32 v53, 16, v47
	v_lshrrev_b32_e32 v51, 16, v39
	s_waitcnt lgkmcnt(1)
	v_lshrrev_b32_e32 v52, 16, v48
	v_mul_u32_u24_e32 v25, 0x180, v25
	v_or_b32_sdwa v25, v25, v29 dst_sel:DWORD dst_unused:UNUSED_PAD src0_sel:DWORD src1_sel:BYTE_0
	v_lshl_add_u32 v25, v25, 2, 0
	s_waitcnt lgkmcnt(0)
	s_barrier
	s_waitcnt vmcnt(2)
	v_mul_f16_sdwa v54, v22, v53 dst_sel:DWORD dst_unused:UNUSED_PAD src0_sel:WORD_1 src1_sel:DWORD
	v_fma_f16 v54, v22, v47, v54
	v_mul_f16_sdwa v47, v22, v47 dst_sel:DWORD dst_unused:UNUSED_PAD src0_sel:WORD_1 src1_sel:DWORD
	v_fma_f16 v22, v22, v53, -v47
	v_lshrrev_b32_e32 v47, 16, v35
	v_mul_f16_sdwa v53, v23, v47 dst_sel:DWORD dst_unused:UNUSED_PAD src0_sel:WORD_1 src1_sel:DWORD
	v_fma_f16 v53, v23, v35, v53
	v_mul_f16_sdwa v35, v23, v35 dst_sel:DWORD dst_unused:UNUSED_PAD src0_sel:WORD_1 src1_sel:DWORD
	v_fma_f16 v23, v23, v47, -v35
	v_lshrrev_b32_e32 v35, 16, v36
	;; [unrolled: 5-line block ×3, first 2 shown]
	s_waitcnt vmcnt(1)
	v_mul_f16_sdwa v36, v26, v35 dst_sel:DWORD dst_unused:UNUSED_PAD src0_sel:WORD_1 src1_sel:DWORD
	v_fma_f16 v36, v26, v41, v36
	v_mul_f16_sdwa v41, v26, v41 dst_sel:DWORD dst_unused:UNUSED_PAD src0_sel:WORD_1 src1_sel:DWORD
	v_fma_f16 v26, v26, v35, -v41
	v_lshrrev_b32_e32 v35, 16, v38
	v_mul_f16_sdwa v41, v27, v35 dst_sel:DWORD dst_unused:UNUSED_PAD src0_sel:WORD_1 src1_sel:DWORD
	v_fma_f16 v41, v27, v38, v41
	v_mul_f16_sdwa v38, v27, v38 dst_sel:DWORD dst_unused:UNUSED_PAD src0_sel:WORD_1 src1_sel:DWORD
	v_fma_f16 v27, v27, v35, -v38
	v_mul_f16_sdwa v35, v49, v28 dst_sel:DWORD dst_unused:UNUSED_PAD src0_sel:DWORD src1_sel:WORD_1
	v_fma_f16 v35, v37, v28, v35
	v_mul_f16_sdwa v37, v37, v28 dst_sel:DWORD dst_unused:UNUSED_PAD src0_sel:DWORD src1_sel:WORD_1
	v_fma_f16 v28, v49, v28, -v37
	s_waitcnt vmcnt(0)
	v_mul_f16_sdwa v37, v50, v30 dst_sel:DWORD dst_unused:UNUSED_PAD src0_sel:DWORD src1_sel:WORD_1
	v_fma_f16 v37, v34, v30, v37
	v_mul_f16_sdwa v34, v34, v30 dst_sel:DWORD dst_unused:UNUSED_PAD src0_sel:DWORD src1_sel:WORD_1
	v_fma_f16 v30, v50, v30, -v34
	v_mul_f16_sdwa v34, v51, v31 dst_sel:DWORD dst_unused:UNUSED_PAD src0_sel:DWORD src1_sel:WORD_1
	v_mul_f16_sdwa v38, v39, v31 dst_sel:DWORD dst_unused:UNUSED_PAD src0_sel:DWORD src1_sel:WORD_1
	v_fma_f16 v34, v39, v31, v34
	v_fma_f16 v31, v51, v31, -v38
	v_mul_f16_sdwa v38, v52, v32 dst_sel:DWORD dst_unused:UNUSED_PAD src0_sel:DWORD src1_sel:WORD_1
	v_mul_f16_sdwa v39, v48, v32 dst_sel:DWORD dst_unused:UNUSED_PAD src0_sel:DWORD src1_sel:WORD_1
	v_fma_f16 v38, v48, v32, v38
	v_fma_f16 v32, v52, v32, -v39
	v_lshrrev_b32_e32 v39, 16, v40
	v_sub_f16_e32 v48, v40, v53
	v_sub_f16_e32 v23, v39, v23
	;; [unrolled: 1-line block ×4, first 2 shown]
	v_fma_f16 v40, v40, 2.0, -v48
	v_fma_f16 v39, v39, 2.0, -v23
	;; [unrolled: 1-line block ×4, first 2 shown]
	v_sub_f16_e32 v49, v40, v49
	v_sub_f16_e32 v22, v39, v22
	v_add_f16_e32 v24, v48, v24
	v_sub_f16_e32 v47, v23, v47
	v_fma_f16 v40, v40, 2.0, -v49
	v_fma_f16 v39, v39, 2.0, -v22
	;; [unrolled: 1-line block ×4, first 2 shown]
	v_lshrrev_b32_e32 v50, 16, v45
	v_pack_b32_f16 v29, v40, v39
	v_pack_b32_f16 v23, v48, v23
	v_sub_f16_e32 v41, v45, v41
	v_sub_f16_e32 v27, v50, v27
	;; [unrolled: 1-line block ×4, first 2 shown]
	ds_write2_b32 v25, v29, v23 offset1:96
	v_pack_b32_f16 v22, v49, v22
	v_pack_b32_f16 v23, v24, v47
	v_add_u32_e32 v24, 0x200, v25
	v_fma_f16 v45, v45, 2.0, -v41
	v_fma_f16 v50, v50, 2.0, -v27
	;; [unrolled: 1-line block ×4, first 2 shown]
	ds_write2_b32 v24, v22, v23 offset0:64 offset1:160
	v_mul_lo_u16_e32 v22, 0x180, v33
	v_sub_f16_e32 v36, v45, v36
	v_sub_f16_e32 v26, v50, v26
	v_add_f16_e32 v28, v41, v28
	v_sub_f16_e32 v35, v27, v35
	v_or_b32_e32 v22, v22, v42
	v_fma_f16 v45, v45, 2.0, -v36
	v_fma_f16 v50, v50, 2.0, -v26
	;; [unrolled: 1-line block ×4, first 2 shown]
	v_and_b32_e32 v22, 0xffff, v22
	v_lshrrev_b32_e32 v51, 16, v46
	v_lshl_add_u32 v22, v22, 2, 0
	v_pack_b32_f16 v23, v45, v50
	v_pack_b32_f16 v24, v41, v27
	v_sub_f16_e32 v34, v46, v34
	v_sub_f16_e32 v31, v51, v31
	;; [unrolled: 1-line block ×4, first 2 shown]
	ds_write2_b32 v22, v23, v24 offset1:96
	v_pack_b32_f16 v23, v36, v26
	v_pack_b32_f16 v24, v28, v35
	v_add_u32_e32 v22, 0x200, v22
	v_fma_f16 v46, v46, 2.0, -v34
	v_fma_f16 v51, v51, 2.0, -v31
	;; [unrolled: 1-line block ×4, first 2 shown]
	ds_write2_b32 v22, v23, v24 offset0:64 offset1:160
	v_mul_lo_u16_e32 v22, 0x180, v43
	v_sub_f16_e32 v37, v46, v37
	v_sub_f16_e32 v30, v51, v30
	v_add_f16_e32 v32, v34, v32
	v_sub_f16_e32 v38, v31, v38
	v_or_b32_e32 v22, v22, v44
	v_fma_f16 v46, v46, 2.0, -v37
	v_fma_f16 v51, v51, 2.0, -v30
	;; [unrolled: 1-line block ×4, first 2 shown]
	v_and_b32_e32 v22, 0xffff, v22
	v_lshl_add_u32 v22, v22, 2, 0
	v_pack_b32_f16 v23, v46, v51
	v_pack_b32_f16 v24, v34, v31
	ds_write2_b32 v22, v23, v24 offset1:96
	v_pack_b32_f16 v23, v37, v30
	v_pack_b32_f16 v24, v32, v38
	v_add_u32_e32 v22, 0x200, v22
	ds_write2_b32 v22, v23, v24 offset0:64 offset1:160
	v_mul_u32_u24_e32 v22, 3, v0
	v_lshlrev_b32_e32 v25, 2, v22
	s_waitcnt lgkmcnt(0)
	s_barrier
	global_load_dwordx3 v[22:24], v25, s[8:9] offset:1512
	v_add_u32_e32 v26, 0xffffff80, v0
	v_cndmask_b32_e64 v29, v26, v14, s[0:1]
	v_mul_i32_i24_e32 v26, 3, v29
	v_mov_b32_e32 v27, 0
	v_lshl_add_u64 v[34:35], v[26:27], 2, s[8:9]
	global_load_dwordx3 v[26:28], v[34:35], off offset:1512
	global_load_dwordx3 v[30:32], v25, s[8:9] offset:3048
	ds_read2st64_b32 v[34:35], v16 offset0:20 offset1:24
	ds_read2st64_b32 v[36:37], v16 offset0:36 offset1:40
	ds_read2st64_b32 v[38:39], v16 offset0:28 offset1:32
	ds_read_b32 v25, v21
	ds_read_b32 v33, v19
	;; [unrolled: 1-line block ×3, first 2 shown]
	ds_read_b32 v43, v16 offset:11264
	ds_read2st64_b32 v[40:41], v16 offset1:16
	s_waitcnt lgkmcnt(6)
	v_lshrrev_b32_e32 v44, 16, v37
	v_lshrrev_b32_e32 v45, 16, v34
	s_waitcnt lgkmcnt(2)
	v_lshrrev_b32_e32 v48, 16, v42
	v_lshrrev_b32_e32 v46, 16, v39
	s_waitcnt lgkmcnt(1)
	v_lshrrev_b32_e32 v47, 16, v43
	s_waitcnt lgkmcnt(0)
	s_barrier
	s_movk_i32 s0, 0x17f
	v_cmp_lt_u32_e64 s[0:1], s0, v14
	s_waitcnt vmcnt(2)
	v_mul_f16_sdwa v49, v22, v48 dst_sel:DWORD dst_unused:UNUSED_PAD src0_sel:WORD_1 src1_sel:DWORD
	v_fma_f16 v49, v22, v42, v49
	v_mul_f16_sdwa v42, v22, v42 dst_sel:DWORD dst_unused:UNUSED_PAD src0_sel:WORD_1 src1_sel:DWORD
	v_fma_f16 v22, v22, v48, -v42
	v_lshrrev_b32_e32 v42, 16, v35
	v_mul_f16_sdwa v48, v23, v42 dst_sel:DWORD dst_unused:UNUSED_PAD src0_sel:WORD_1 src1_sel:DWORD
	v_fma_f16 v48, v23, v35, v48
	v_mul_f16_sdwa v35, v23, v35 dst_sel:DWORD dst_unused:UNUSED_PAD src0_sel:WORD_1 src1_sel:DWORD
	v_fma_f16 v23, v23, v42, -v35
	v_lshrrev_b32_e32 v35, 16, v36
	;; [unrolled: 5-line block ×3, first 2 shown]
	s_waitcnt vmcnt(1)
	v_mul_f16_sdwa v36, v26, v35 dst_sel:DWORD dst_unused:UNUSED_PAD src0_sel:WORD_1 src1_sel:DWORD
	v_fma_f16 v36, v26, v41, v36
	v_mul_f16_sdwa v41, v26, v41 dst_sel:DWORD dst_unused:UNUSED_PAD src0_sel:WORD_1 src1_sel:DWORD
	v_fma_f16 v26, v26, v35, -v41
	v_lshrrev_b32_e32 v35, 16, v38
	v_mul_f16_sdwa v41, v27, v35 dst_sel:DWORD dst_unused:UNUSED_PAD src0_sel:WORD_1 src1_sel:DWORD
	v_fma_f16 v41, v27, v38, v41
	v_mul_f16_sdwa v38, v27, v38 dst_sel:DWORD dst_unused:UNUSED_PAD src0_sel:WORD_1 src1_sel:DWORD
	v_fma_f16 v27, v27, v35, -v38
	v_mul_f16_sdwa v35, v44, v28 dst_sel:DWORD dst_unused:UNUSED_PAD src0_sel:DWORD src1_sel:WORD_1
	v_fma_f16 v35, v37, v28, v35
	v_mul_f16_sdwa v37, v37, v28 dst_sel:DWORD dst_unused:UNUSED_PAD src0_sel:DWORD src1_sel:WORD_1
	v_fma_f16 v28, v44, v28, -v37
	s_waitcnt vmcnt(0)
	v_mul_f16_sdwa v37, v45, v30 dst_sel:DWORD dst_unused:UNUSED_PAD src0_sel:DWORD src1_sel:WORD_1
	v_fma_f16 v37, v34, v30, v37
	v_mul_f16_sdwa v34, v34, v30 dst_sel:DWORD dst_unused:UNUSED_PAD src0_sel:DWORD src1_sel:WORD_1
	v_fma_f16 v30, v45, v30, -v34
	v_mul_f16_sdwa v34, v46, v31 dst_sel:DWORD dst_unused:UNUSED_PAD src0_sel:DWORD src1_sel:WORD_1
	v_mul_f16_sdwa v38, v39, v31 dst_sel:DWORD dst_unused:UNUSED_PAD src0_sel:DWORD src1_sel:WORD_1
	v_fma_f16 v34, v39, v31, v34
	v_fma_f16 v31, v46, v31, -v38
	v_mul_f16_sdwa v38, v47, v32 dst_sel:DWORD dst_unused:UNUSED_PAD src0_sel:DWORD src1_sel:WORD_1
	v_mul_f16_sdwa v39, v43, v32 dst_sel:DWORD dst_unused:UNUSED_PAD src0_sel:DWORD src1_sel:WORD_1
	v_fma_f16 v38, v43, v32, v38
	v_fma_f16 v32, v47, v32, -v39
	v_lshrrev_b32_e32 v39, 16, v40
	v_sub_f16_e32 v43, v40, v48
	v_sub_f16_e32 v23, v39, v23
	;; [unrolled: 1-line block ×4, first 2 shown]
	v_fma_f16 v40, v40, 2.0, -v43
	v_fma_f16 v39, v39, 2.0, -v23
	;; [unrolled: 1-line block ×4, first 2 shown]
	v_sub_f16_e32 v44, v40, v44
	v_sub_f16_e32 v22, v39, v22
	v_add_f16_e32 v24, v43, v24
	v_sub_f16_e32 v42, v23, v42
	v_fma_f16 v40, v40, 2.0, -v44
	v_fma_f16 v39, v39, 2.0, -v22
	;; [unrolled: 1-line block ×4, first 2 shown]
	v_lshrrev_b32_e32 v45, 16, v25
	v_pack_b32_f16 v39, v40, v39
	v_pack_b32_f16 v23, v43, v23
	v_sub_f16_e32 v41, v25, v41
	v_sub_f16_e32 v27, v45, v27
	;; [unrolled: 1-line block ×4, first 2 shown]
	ds_write2st64_b32 v16, v39, v23 offset1:6
	v_pack_b32_f16 v22, v44, v22
	v_pack_b32_f16 v23, v24, v42
	v_fma_f16 v25, v25, 2.0, -v41
	v_fma_f16 v45, v45, 2.0, -v27
	;; [unrolled: 1-line block ×4, first 2 shown]
	v_lshrrev_b32_e32 v46, 16, v33
	ds_write2st64_b32 v16, v22, v23 offset0:12 offset1:18
	v_mov_b32_e32 v22, 0x600
	v_sub_f16_e32 v36, v25, v36
	v_sub_f16_e32 v26, v45, v26
	v_add_f16_e32 v28, v41, v28
	v_sub_f16_e32 v35, v27, v35
	v_sub_f16_e32 v34, v33, v34
	;; [unrolled: 1-line block ×5, first 2 shown]
	v_cndmask_b32_e64 v22, 0, v22, s[0:1]
	v_fma_f16 v25, v25, 2.0, -v36
	v_fma_f16 v45, v45, 2.0, -v26
	v_fma_f16 v41, v41, 2.0, -v28
	v_fma_f16 v27, v27, 2.0, -v35
	v_fma_f16 v33, v33, 2.0, -v34
	v_fma_f16 v46, v46, 2.0, -v31
	v_fma_f16 v37, v37, 2.0, -v38
	v_fma_f16 v30, v30, 2.0, -v32
	v_or_b32_e32 v22, v22, v29
	v_sub_f16_e32 v37, v33, v37
	v_sub_f16_e32 v30, v46, v30
	v_add_f16_e32 v32, v34, v32
	v_sub_f16_e32 v38, v31, v38
	v_lshl_add_u32 v22, v22, 2, 0
	v_pack_b32_f16 v23, v25, v45
	v_pack_b32_f16 v24, v41, v27
	v_fma_f16 v33, v33, 2.0, -v37
	v_fma_f16 v46, v46, 2.0, -v30
	;; [unrolled: 1-line block ×4, first 2 shown]
	ds_write2st64_b32 v22, v23, v24 offset1:6
	v_pack_b32_f16 v23, v36, v26
	v_pack_b32_f16 v24, v28, v35
	ds_write2st64_b32 v22, v23, v24 offset0:12 offset1:18
	v_pack_b32_f16 v22, v33, v46
	v_pack_b32_f16 v23, v34, v31
	ds_write2st64_b32 v16, v22, v23 offset0:26 offset1:32
	;; [unrolled: 3-line block ×3, first 2 shown]
	v_lshl_add_u64 v[22:23], v[0:1], 2, s[8:9]
	v_add_co_u32_e64 v22, s[0:1], s4, v22
	s_waitcnt lgkmcnt(0)
	s_nop 0
	v_addc_co_u32_e64 v23, s[0:1], 0, v23, s[0:1]
	s_barrier
	global_load_dword v30, v[22:23], off offset:2024
	v_lshl_add_u64 v[22:23], v[6:7], 2, s[8:9]
	v_add_co_u32_e64 v22, s[0:1], s4, v22
	s_nop 1
	v_addc_co_u32_e64 v23, s[0:1], 0, v23, s[0:1]
	global_load_dword v31, v[22:23], off offset:2024
	v_lshl_add_u64 v[22:23], v[8:9], 2, s[8:9]
	v_add_co_u32_e64 v22, s[0:1], s4, v22
	s_nop 1
	v_addc_co_u32_e64 v23, s[0:1], 0, v23, s[0:1]
	;; [unrolled: 5-line block ×4, first 2 shown]
	global_load_dword v34, v[22:23], off offset:2024
	v_lshl_add_u64 v[22:23], v[14:15], 2, s[8:9]
	v_add_co_u32_e64 v22, s[0:1], s4, v22
	s_add_u32 s4, s8, 0x2fe8
	s_nop 0
	v_addc_co_u32_e64 v23, s[0:1], 0, v23, s[0:1]
	global_load_dword v35, v[22:23], off offset:2024
	v_lshl_add_u32 v23, v8, 2, 0
	ds_read2st64_b32 v[24:25], v16 offset1:24
	ds_read2st64_b32 v[26:27], v16 offset0:28 offset1:32
	ds_read2st64_b32 v[28:29], v16 offset0:36 offset1:40
	ds_read_b32 v36, v23
	v_lshl_add_u32 v22, v6, 2, 0
	ds_read_b32 v37, v21
	ds_read_b32 v38, v22
	;; [unrolled: 1-line block ×4, first 2 shown]
	ds_read_b32 v43, v16 offset:11264
	s_waitcnt lgkmcnt(0)
	s_barrier
	s_addc_u32 s5, s9, 0
	v_cmp_ne_u32_e64 s[0:1], 0, v0
	s_waitcnt vmcnt(5)
	v_pk_mul_f16 v39, v30, v25 op_sel:[0,1]
	s_nop 0
	v_pk_fma_f16 v40, v30, v25, v39 op_sel:[0,0,1] op_sel_hi:[1,1,0]
	v_pk_fma_f16 v25, v30, v25, v39 op_sel:[0,0,1] op_sel_hi:[1,0,0] neg_lo:[1,0,0] neg_hi:[1,0,0]
	s_waitcnt vmcnt(4)
	v_pk_mul_f16 v30, v43, v31 op_sel:[0,1]
	s_nop 0
	v_pk_fma_f16 v39, v43, v31, v30 op_sel:[0,0,1] op_sel_hi:[1,1,0]
	v_pk_fma_f16 v30, v43, v31, v30 op_sel:[0,0,1] op_sel_hi:[1,0,0] neg_lo:[0,0,1] neg_hi:[0,0,1]
	v_bfi_b32 v25, s10, v40, v25
	v_bfi_b32 v30, s10, v39, v30
	v_pk_add_f16 v30, v38, v30 neg_lo:[0,1] neg_hi:[0,1]
	v_pk_add_f16 v25, v24, v25 neg_lo:[0,1] neg_hi:[0,1]
	v_pk_fma_f16 v31, v38, 2.0, v30 op_sel_hi:[1,0,1] neg_lo:[0,0,1] neg_hi:[0,0,1]
	s_waitcnt vmcnt(3)
	v_pk_mul_f16 v38, v32, v29 op_sel:[0,1]
	v_pk_fma_f16 v24, v24, 2.0, v25 op_sel_hi:[1,0,1] neg_lo:[0,0,1] neg_hi:[0,0,1]
	v_pk_fma_f16 v39, v32, v29, v38 op_sel:[0,0,1] op_sel_hi:[1,1,0]
	v_pk_fma_f16 v29, v32, v29, v38 op_sel:[0,0,1] op_sel_hi:[1,0,0] neg_lo:[1,0,0] neg_hi:[1,0,0]
	s_nop 0
	v_bfi_b32 v29, s10, v39, v29
	v_pk_add_f16 v29, v36, v29 neg_lo:[0,1] neg_hi:[0,1]
	s_nop 0
	v_pk_fma_f16 v32, v36, 2.0, v29 op_sel_hi:[1,0,1] neg_lo:[0,0,1] neg_hi:[0,0,1]
	s_waitcnt vmcnt(2)
	v_pk_mul_f16 v36, v33, v28 op_sel:[0,1]
	s_nop 0
	v_pk_fma_f16 v38, v33, v28, v36 op_sel:[0,0,1] op_sel_hi:[1,1,0]
	v_pk_fma_f16 v28, v33, v28, v36 op_sel:[0,0,1] op_sel_hi:[1,0,0] neg_lo:[1,0,0] neg_hi:[1,0,0]
	s_waitcnt vmcnt(1)
	v_pk_mul_f16 v36, v34, v27 op_sel:[0,1]
	v_bfi_b32 v28, s10, v38, v28
	v_pk_fma_f16 v38, v34, v27, v36 op_sel:[0,0,1] op_sel_hi:[1,1,0]
	v_pk_fma_f16 v27, v34, v27, v36 op_sel:[0,0,1] op_sel_hi:[1,0,0] neg_lo:[1,0,0] neg_hi:[1,0,0]
	v_pk_add_f16 v28, v42, v28 neg_lo:[0,1] neg_hi:[0,1]
	v_bfi_b32 v27, s10, v38, v27
	v_pk_add_f16 v27, v41, v27 neg_lo:[0,1] neg_hi:[0,1]
	s_waitcnt vmcnt(0)
	v_pk_mul_f16 v36, v35, v26 op_sel:[0,1]
	v_pk_fma_f16 v33, v42, 2.0, v28 op_sel_hi:[1,0,1] neg_lo:[0,0,1] neg_hi:[0,0,1]
	v_pk_fma_f16 v38, v35, v26, v36 op_sel:[0,0,1] op_sel_hi:[1,1,0]
	v_pk_fma_f16 v26, v35, v26, v36 op_sel:[0,0,1] op_sel_hi:[1,0,0] neg_lo:[1,0,0] neg_hi:[1,0,0]
	v_pk_fma_f16 v34, v41, 2.0, v27 op_sel_hi:[1,0,1] neg_lo:[0,0,1] neg_hi:[0,0,1]
	v_bfi_b32 v26, s10, v38, v26
	v_pk_add_f16 v26, v37, v26 neg_lo:[0,1] neg_hi:[0,1]
	s_nop 0
	v_pk_fma_f16 v35, v37, 2.0, v26 op_sel_hi:[1,0,1] neg_lo:[0,0,1] neg_hi:[0,0,1]
	ds_write2st64_b32 v16, v24, v25 offset1:24
	ds_write2st64_b32 v21, v35, v26 offset1:24
	;; [unrolled: 1-line block ×6, first 2 shown]
	s_waitcnt lgkmcnt(0)
	s_barrier
	ds_read_b32 v26, v16
                                        ; implicit-def: $vgpr25
                                        ; implicit-def: $vgpr21
                                        ; implicit-def: $vgpr24
	s_and_saveexec_b64 s[8:9], s[0:1]
	s_xor_b64 s[0:1], exec, s[8:9]
	s_cbranch_execz .LBB0_15
; %bb.14:
	v_lshl_add_u64 v[24:25], v[0:1], 2, s[4:5]
	global_load_dword v1, v[24:25], off
	ds_read_b32 v21, v20 offset:12288
	s_waitcnt lgkmcnt(0)
	v_pk_add_f16 v24, v26, v21 neg_lo:[0,1] neg_hi:[0,1]
	v_pk_add_f16 v21, v21, v26
	s_nop 0
	v_bfi_b32 v25, s10, v24, v21
	v_bfi_b32 v21, s10, v21, v24
	v_pk_mul_f16 v24, v25, 0.5 op_sel_hi:[1,0]
	v_pk_mul_f16 v25, v21, 0.5 op_sel_hi:[1,0]
	s_waitcnt vmcnt(0)
	v_pk_mul_f16 v26, v1, v24 op_sel:[1,0]
	v_pk_mul_f16 v1, v1, v24 op_sel_hi:[0,1]
	v_pk_fma_f16 v21, v21, 0.5, v26 op_sel_hi:[1,0,1]
	v_sub_f16_e32 v24, v25, v26
	v_sub_f16_sdwa v26, v26, v25 dst_sel:DWORD dst_unused:UNUSED_PAD src0_sel:WORD_1 src1_sel:WORD_1
	v_pk_add_f16 v25, v21, v1 op_sel:[0,1] op_sel_hi:[1,0]
	v_pk_add_f16 v27, v21, v1 op_sel:[0,1] op_sel_hi:[1,0] neg_lo:[0,1] neg_hi:[0,1]
	v_sub_f16_sdwa v21, v24, v1 dst_sel:DWORD dst_unused:UNUSED_PAD src0_sel:DWORD src1_sel:WORD_1
	v_bfi_b32 v25, s10, v25, v27
	v_sub_f16_e32 v24, v26, v1
                                        ; implicit-def: $vgpr26
.LBB0_15:
	s_or_saveexec_b64 s[0:1], s[0:1]
	v_mul_i32_i24_e32 v1, 0xffffffec, v14
	s_xor_b64 exec, exec, s[0:1]
	s_cbranch_execz .LBB0_17
; %bb.16:
	v_mov_b32_e32 v24, 0
	ds_read_u16 v25, v24 offset:6146
	s_waitcnt lgkmcnt(1)
	v_alignbit_b32 v27, s0, v26, 16
	v_sub_f16_sdwa v21, v26, v26 dst_sel:DWORD dst_unused:UNUSED_PAD src0_sel:DWORD src1_sel:WORD_1
	v_pk_add_f16 v26, v27, v26
	s_waitcnt lgkmcnt(0)
	v_xor_b32_e32 v25, 0x8000, v25
	ds_write_b16 v24, v25 offset:6146
	v_pack_b32_f16 v25, v26, 0
.LBB0_17:
	s_or_b64 exec, exec, s[0:1]
	v_lshl_add_u64 v[14:15], v[14:15], 2, s[4:5]
	global_load_dword v14, v[14:15], off
	v_lshl_add_u64 v[12:13], v[12:13], 2, s[4:5]
	global_load_dword v12, v[12:13], off
	;; [unrolled: 2-line block ×3, first 2 shown]
	ds_write_b16 v20, v24 offset:12290
	ds_write_b32 v16, v25
	ds_write_b16 v20, v21 offset:12288
	v_add_u32_e32 v1, v17, v1
	v_lshl_add_u64 v[8:9], v[8:9], 2, s[4:5]
	ds_read_b32 v11, v1
	ds_read_b32 v13, v20 offset:11264
	global_load_dword v8, v[8:9], off
	s_mov_b32 s0, 0xffff
	v_lshl_add_u64 v[6:7], v[6:7], 2, s[4:5]
	s_waitcnt lgkmcnt(0)
	v_pk_add_f16 v9, v11, v13 neg_lo:[0,1] neg_hi:[0,1]
	v_pk_add_f16 v11, v11, v13
	s_nop 0
	v_bfi_b32 v13, s0, v9, v11
	v_bfi_b32 v9, s0, v11, v9
	v_pk_mul_f16 v11, v13, 0.5 op_sel_hi:[1,0]
	v_pk_mul_f16 v9, v9, 0.5 op_sel_hi:[1,0]
	s_waitcnt vmcnt(3)
	v_pk_mul_f16 v15, v14, v11 op_sel_hi:[0,1]
	v_pk_fma_f16 v13, v14, v11, v9 op_sel:[1,0,0]
	v_pk_fma_f16 v16, v14, v11, v9 op_sel:[1,0,0] neg_lo:[1,0,0] neg_hi:[1,0,0]
	v_pk_fma_f16 v9, v14, v11, v9 op_sel:[1,0,0] neg_lo:[0,0,1] neg_hi:[0,0,1]
	v_pk_add_f16 v11, v13, v15 op_sel:[0,1] op_sel_hi:[1,0]
	v_pk_add_f16 v13, v13, v15 op_sel:[0,1] op_sel_hi:[1,0] neg_lo:[0,1] neg_hi:[0,1]
	v_pk_add_f16 v14, v16, v15 op_sel:[0,1] op_sel_hi:[1,0] neg_lo:[0,1] neg_hi:[0,1]
	;; [unrolled: 1-line block ×3, first 2 shown]
	v_bfi_b32 v11, s0, v11, v13
	v_bfi_b32 v9, s0, v14, v9
	ds_write_b32 v1, v11
	ds_write_b32 v20, v9 offset:11264
	ds_read_b32 v1, v19
	ds_read_b32 v9, v20 offset:10240
	global_load_dword v6, v[6:7], off
	s_waitcnt lgkmcnt(0)
	v_pk_add_f16 v7, v1, v9 neg_lo:[0,1] neg_hi:[0,1]
	v_pk_add_f16 v1, v1, v9
	s_nop 0
	v_bfi_b32 v9, s0, v7, v1
	v_bfi_b32 v1, s0, v1, v7
	v_pk_mul_f16 v7, v9, 0.5 op_sel_hi:[1,0]
	v_pk_mul_f16 v1, v1, 0.5 op_sel_hi:[1,0]
	s_waitcnt vmcnt(3)
	v_pk_mul_f16 v11, v12, v7 op_sel_hi:[0,1]
	v_pk_fma_f16 v9, v12, v7, v1 op_sel:[1,0,0]
	v_pk_fma_f16 v13, v12, v7, v1 op_sel:[1,0,0] neg_lo:[1,0,0] neg_hi:[1,0,0]
	v_pk_fma_f16 v1, v12, v7, v1 op_sel:[1,0,0] neg_lo:[0,0,1] neg_hi:[0,0,1]
	v_pk_add_f16 v7, v9, v11 op_sel:[0,1] op_sel_hi:[1,0]
	v_pk_add_f16 v9, v9, v11 op_sel:[0,1] op_sel_hi:[1,0] neg_lo:[0,1] neg_hi:[0,1]
	v_pk_add_f16 v12, v13, v11 op_sel:[0,1] op_sel_hi:[1,0] neg_lo:[0,1] neg_hi:[0,1]
	;; [unrolled: 1-line block ×3, first 2 shown]
	v_bfi_b32 v7, s0, v7, v9
	v_bfi_b32 v1, s0, v12, v1
	ds_write_b32 v19, v7
	ds_write_b32 v20, v1 offset:10240
	ds_read_b32 v1, v18
	ds_read_b32 v7, v20 offset:9216
	s_waitcnt lgkmcnt(0)
	v_pk_add_f16 v9, v1, v7 neg_lo:[0,1] neg_hi:[0,1]
	v_pk_add_f16 v1, v1, v7
	s_nop 0
	v_bfi_b32 v7, s0, v9, v1
	v_bfi_b32 v1, s0, v1, v9
	v_pk_mul_f16 v7, v7, 0.5 op_sel_hi:[1,0]
	v_pk_mul_f16 v9, v1, 0.5 op_sel_hi:[1,0]
	s_waitcnt vmcnt(2)
	v_pk_mul_f16 v11, v10, v7 op_sel:[1,0]
	v_pk_mul_f16 v7, v10, v7 op_sel_hi:[0,1]
	v_pk_fma_f16 v1, v1, 0.5, v11 op_sel_hi:[1,0,1]
	v_sub_f16_e32 v10, v9, v11
	v_sub_f16_sdwa v9, v11, v9 dst_sel:DWORD dst_unused:UNUSED_PAD src0_sel:WORD_1 src1_sel:WORD_1
	v_pk_add_f16 v11, v1, v7 op_sel:[0,1] op_sel_hi:[1,0]
	v_pk_add_f16 v1, v1, v7 op_sel:[0,1] op_sel_hi:[1,0] neg_lo:[0,1] neg_hi:[0,1]
	v_sub_f16_sdwa v10, v10, v7 dst_sel:DWORD dst_unused:UNUSED_PAD src0_sel:DWORD src1_sel:WORD_1
	v_sub_f16_e32 v7, v9, v7
	v_bfi_b32 v1, s0, v11, v1
	ds_write_b16 v20, v7 offset:9218
	ds_write_b32 v18, v1
	ds_write_b16 v20, v10 offset:9216
	ds_read_b32 v1, v23
	ds_read_b32 v7, v20 offset:8192
	s_waitcnt lgkmcnt(0)
	v_pk_add_f16 v9, v1, v7 neg_lo:[0,1] neg_hi:[0,1]
	v_pk_add_f16 v1, v1, v7
	s_nop 0
	v_bfi_b32 v7, s0, v9, v1
	v_bfi_b32 v1, s0, v1, v9
	v_pk_mul_f16 v7, v7, 0.5 op_sel_hi:[1,0]
	v_pk_mul_f16 v1, v1, 0.5 op_sel_hi:[1,0]
	s_waitcnt vmcnt(1)
	v_pk_mul_f16 v10, v8, v7 op_sel_hi:[0,1]
	v_pk_fma_f16 v9, v8, v7, v1 op_sel:[1,0,0]
	v_pk_fma_f16 v11, v8, v7, v1 op_sel:[1,0,0] neg_lo:[1,0,0] neg_hi:[1,0,0]
	v_pk_fma_f16 v1, v8, v7, v1 op_sel:[1,0,0] neg_lo:[0,0,1] neg_hi:[0,0,1]
	v_pk_add_f16 v7, v9, v10 op_sel:[0,1] op_sel_hi:[1,0]
	v_pk_add_f16 v8, v9, v10 op_sel:[0,1] op_sel_hi:[1,0] neg_lo:[0,1] neg_hi:[0,1]
	v_pk_add_f16 v9, v11, v10 op_sel:[0,1] op_sel_hi:[1,0] neg_lo:[0,1] neg_hi:[0,1]
	;; [unrolled: 1-line block ×3, first 2 shown]
	v_bfi_b32 v7, s0, v7, v8
	v_bfi_b32 v1, s0, v9, v1
	ds_write_b32 v23, v7
	ds_write_b32 v20, v1 offset:8192
	ds_read_b32 v1, v22
	ds_read_b32 v7, v20 offset:7168
	s_waitcnt lgkmcnt(0)
	v_pk_add_f16 v8, v1, v7 neg_lo:[0,1] neg_hi:[0,1]
	v_pk_add_f16 v1, v1, v7
	s_nop 0
	v_bfi_b32 v7, s0, v8, v1
	v_bfi_b32 v1, s0, v1, v8
	v_pk_mul_f16 v7, v7, 0.5 op_sel_hi:[1,0]
	v_pk_mul_f16 v1, v1, 0.5 op_sel_hi:[1,0]
	s_waitcnt vmcnt(0)
	v_pk_mul_f16 v9, v6, v7 op_sel_hi:[0,1]
	v_pk_fma_f16 v8, v6, v7, v1 op_sel:[1,0,0]
	v_pk_fma_f16 v10, v6, v7, v1 op_sel:[1,0,0] neg_lo:[1,0,0] neg_hi:[1,0,0]
	v_pk_fma_f16 v1, v6, v7, v1 op_sel:[1,0,0] neg_lo:[0,0,1] neg_hi:[0,0,1]
	v_pk_add_f16 v6, v8, v9 op_sel:[0,1] op_sel_hi:[1,0]
	v_pk_add_f16 v7, v8, v9 op_sel:[0,1] op_sel_hi:[1,0] neg_lo:[0,1] neg_hi:[0,1]
	v_pk_add_f16 v8, v10, v9 op_sel:[0,1] op_sel_hi:[1,0] neg_lo:[0,1] neg_hi:[0,1]
	;; [unrolled: 1-line block ×3, first 2 shown]
	v_bfi_b32 v6, s0, v6, v7
	v_bfi_b32 v1, s0, v8, v1
	ds_write_b32 v22, v6
	ds_write_b32 v20, v1 offset:7168
	s_waitcnt lgkmcnt(0)
	s_barrier
	s_and_saveexec_b64 s[0:1], vcc
	s_cbranch_execz .LBB0_20
; %bb.18:
	v_mul_lo_u32 v1, s3, v4
	v_mul_lo_u32 v6, s2, v5
	v_mad_u64_u32 v[4:5], s[0:1], s2, v4, 0
	v_lshl_add_u32 v10, v0, 2, 0
	v_add3_u32 v5, v5, v6, v1
	ds_read2st64_b32 v[6:7], v10 offset1:4
	v_lshl_add_u64 v[4:5], v[4:5], 2, s[6:7]
	v_mov_b32_e32 v1, 0
	v_lshl_add_u64 v[2:3], v[2:3], 2, v[4:5]
	v_lshl_add_u64 v[4:5], v[0:1], 2, v[2:3]
	ds_read2st64_b32 v[8:9], v10 offset0:8 offset1:12
	s_waitcnt lgkmcnt(1)
	global_store_dword v[4:5], v6, off
	v_add_u32_e32 v4, 0x100, v0
	v_mov_b32_e32 v5, v1
	v_lshl_add_u64 v[4:5], v[4:5], 2, v[2:3]
	global_store_dword v[4:5], v7, off
	v_add_u32_e32 v4, 0x200, v0
	v_mov_b32_e32 v5, v1
	v_lshl_add_u64 v[4:5], v[4:5], 2, v[2:3]
	ds_read2st64_b32 v[6:7], v10 offset0:16 offset1:20
	s_waitcnt lgkmcnt(1)
	global_store_dword v[4:5], v8, off
	v_add_u32_e32 v4, 0x300, v0
	v_mov_b32_e32 v5, v1
	v_lshl_add_u64 v[4:5], v[4:5], 2, v[2:3]
	global_store_dword v[4:5], v9, off
	v_add_u32_e32 v4, 0x400, v0
	v_mov_b32_e32 v5, v1
	v_lshl_add_u64 v[4:5], v[4:5], 2, v[2:3]
	ds_read2st64_b32 v[8:9], v10 offset0:24 offset1:28
	s_waitcnt lgkmcnt(1)
	global_store_dword v[4:5], v6, off
	v_add_u32_e32 v4, 0x500, v0
	v_mov_b32_e32 v5, v1
	v_lshl_add_u64 v[4:5], v[4:5], 2, v[2:3]
	global_store_dword v[4:5], v7, off
	v_add_u32_e32 v4, 0x600, v0
	v_mov_b32_e32 v5, v1
	v_lshl_add_u64 v[4:5], v[4:5], 2, v[2:3]
	ds_read2st64_b32 v[6:7], v10 offset0:32 offset1:36
	s_waitcnt lgkmcnt(1)
	global_store_dword v[4:5], v8, off
	v_add_u32_e32 v4, 0x700, v0
	v_mov_b32_e32 v5, v1
	v_lshl_add_u64 v[4:5], v[4:5], 2, v[2:3]
	global_store_dword v[4:5], v9, off
	v_add_u32_e32 v4, 0x800, v0
	v_mov_b32_e32 v5, v1
	v_lshl_add_u64 v[4:5], v[4:5], 2, v[2:3]
	ds_read2st64_b32 v[8:9], v10 offset0:40 offset1:44
	s_waitcnt lgkmcnt(1)
	global_store_dword v[4:5], v6, off
	v_add_u32_e32 v4, 0x900, v0
	v_mov_b32_e32 v5, v1
	v_lshl_add_u64 v[4:5], v[4:5], 2, v[2:3]
	global_store_dword v[4:5], v7, off
	v_add_u32_e32 v4, 0xa00, v0
	v_mov_b32_e32 v5, v1
	v_lshl_add_u64 v[4:5], v[4:5], 2, v[2:3]
	s_waitcnt lgkmcnt(0)
	global_store_dword v[4:5], v8, off
	v_add_u32_e32 v4, 0xb00, v0
	v_mov_b32_e32 v5, v1
	s_movk_i32 s0, 0xff
	v_lshl_add_u64 v[4:5], v[4:5], 2, v[2:3]
	v_cmp_eq_u32_e32 vcc, s0, v0
	global_store_dword v[4:5], v9, off
	s_and_b64 exec, exec, vcc
	s_cbranch_execz .LBB0_20
; %bb.19:
	ds_read_b32 v4, v1 offset:12288
	v_add_co_u32_e32 v0, vcc, 0x3000, v2
	s_nop 1
	v_addc_co_u32_e32 v1, vcc, 0, v3, vcc
	s_waitcnt lgkmcnt(0)
	global_store_dword v[0:1], v4, off
.LBB0_20:
	s_endpgm
	.section	.rodata,"a",@progbits
	.p2align	6, 0x0
	.amdhsa_kernel fft_rtc_back_len3072_factors_6_4_4_4_4_2_wgs_256_tpt_256_halfLds_half_op_CI_CI_unitstride_sbrr_R2C_dirReg
		.amdhsa_group_segment_fixed_size 0
		.amdhsa_private_segment_fixed_size 0
		.amdhsa_kernarg_size 104
		.amdhsa_user_sgpr_count 2
		.amdhsa_user_sgpr_dispatch_ptr 0
		.amdhsa_user_sgpr_queue_ptr 0
		.amdhsa_user_sgpr_kernarg_segment_ptr 1
		.amdhsa_user_sgpr_dispatch_id 0
		.amdhsa_user_sgpr_kernarg_preload_length 0
		.amdhsa_user_sgpr_kernarg_preload_offset 0
		.amdhsa_user_sgpr_private_segment_size 0
		.amdhsa_uses_dynamic_stack 0
		.amdhsa_enable_private_segment 0
		.amdhsa_system_sgpr_workgroup_id_x 1
		.amdhsa_system_sgpr_workgroup_id_y 0
		.amdhsa_system_sgpr_workgroup_id_z 0
		.amdhsa_system_sgpr_workgroup_info 0
		.amdhsa_system_vgpr_workitem_id 0
		.amdhsa_next_free_vgpr 59
		.amdhsa_next_free_sgpr 28
		.amdhsa_accum_offset 60
		.amdhsa_reserve_vcc 1
		.amdhsa_float_round_mode_32 0
		.amdhsa_float_round_mode_16_64 0
		.amdhsa_float_denorm_mode_32 3
		.amdhsa_float_denorm_mode_16_64 3
		.amdhsa_dx10_clamp 1
		.amdhsa_ieee_mode 1
		.amdhsa_fp16_overflow 0
		.amdhsa_tg_split 0
		.amdhsa_exception_fp_ieee_invalid_op 0
		.amdhsa_exception_fp_denorm_src 0
		.amdhsa_exception_fp_ieee_div_zero 0
		.amdhsa_exception_fp_ieee_overflow 0
		.amdhsa_exception_fp_ieee_underflow 0
		.amdhsa_exception_fp_ieee_inexact 0
		.amdhsa_exception_int_div_zero 0
	.end_amdhsa_kernel
	.text
.Lfunc_end0:
	.size	fft_rtc_back_len3072_factors_6_4_4_4_4_2_wgs_256_tpt_256_halfLds_half_op_CI_CI_unitstride_sbrr_R2C_dirReg, .Lfunc_end0-fft_rtc_back_len3072_factors_6_4_4_4_4_2_wgs_256_tpt_256_halfLds_half_op_CI_CI_unitstride_sbrr_R2C_dirReg
                                        ; -- End function
	.section	.AMDGPU.csdata,"",@progbits
; Kernel info:
; codeLenInByte = 9228
; NumSgprs: 34
; NumVgprs: 59
; NumAgprs: 0
; TotalNumVgprs: 59
; ScratchSize: 0
; MemoryBound: 0
; FloatMode: 240
; IeeeMode: 1
; LDSByteSize: 0 bytes/workgroup (compile time only)
; SGPRBlocks: 4
; VGPRBlocks: 7
; NumSGPRsForWavesPerEU: 34
; NumVGPRsForWavesPerEU: 59
; AccumOffset: 60
; Occupancy: 8
; WaveLimiterHint : 1
; COMPUTE_PGM_RSRC2:SCRATCH_EN: 0
; COMPUTE_PGM_RSRC2:USER_SGPR: 2
; COMPUTE_PGM_RSRC2:TRAP_HANDLER: 0
; COMPUTE_PGM_RSRC2:TGID_X_EN: 1
; COMPUTE_PGM_RSRC2:TGID_Y_EN: 0
; COMPUTE_PGM_RSRC2:TGID_Z_EN: 0
; COMPUTE_PGM_RSRC2:TIDIG_COMP_CNT: 0
; COMPUTE_PGM_RSRC3_GFX90A:ACCUM_OFFSET: 14
; COMPUTE_PGM_RSRC3_GFX90A:TG_SPLIT: 0
	.text
	.p2alignl 6, 3212836864
	.fill 256, 4, 3212836864
	.type	__hip_cuid_4a5d6a9f933d74fa,@object ; @__hip_cuid_4a5d6a9f933d74fa
	.section	.bss,"aw",@nobits
	.globl	__hip_cuid_4a5d6a9f933d74fa
__hip_cuid_4a5d6a9f933d74fa:
	.byte	0                               ; 0x0
	.size	__hip_cuid_4a5d6a9f933d74fa, 1

	.ident	"AMD clang version 19.0.0git (https://github.com/RadeonOpenCompute/llvm-project roc-6.4.0 25133 c7fe45cf4b819c5991fe208aaa96edf142730f1d)"
	.section	".note.GNU-stack","",@progbits
	.addrsig
	.addrsig_sym __hip_cuid_4a5d6a9f933d74fa
	.amdgpu_metadata
---
amdhsa.kernels:
  - .agpr_count:     0
    .args:
      - .actual_access:  read_only
        .address_space:  global
        .offset:         0
        .size:           8
        .value_kind:     global_buffer
      - .offset:         8
        .size:           8
        .value_kind:     by_value
      - .actual_access:  read_only
        .address_space:  global
        .offset:         16
        .size:           8
        .value_kind:     global_buffer
      - .actual_access:  read_only
        .address_space:  global
        .offset:         24
        .size:           8
        .value_kind:     global_buffer
      - .actual_access:  read_only
        .address_space:  global
        .offset:         32
        .size:           8
        .value_kind:     global_buffer
      - .offset:         40
        .size:           8
        .value_kind:     by_value
      - .actual_access:  read_only
        .address_space:  global
        .offset:         48
        .size:           8
        .value_kind:     global_buffer
      - .actual_access:  read_only
        .address_space:  global
        .offset:         56
        .size:           8
        .value_kind:     global_buffer
      - .offset:         64
        .size:           4
        .value_kind:     by_value
      - .actual_access:  read_only
        .address_space:  global
        .offset:         72
        .size:           8
        .value_kind:     global_buffer
      - .actual_access:  read_only
        .address_space:  global
        .offset:         80
        .size:           8
        .value_kind:     global_buffer
      - .actual_access:  read_only
        .address_space:  global
        .offset:         88
        .size:           8
        .value_kind:     global_buffer
      - .actual_access:  write_only
        .address_space:  global
        .offset:         96
        .size:           8
        .value_kind:     global_buffer
    .group_segment_fixed_size: 0
    .kernarg_segment_align: 8
    .kernarg_segment_size: 104
    .language:       OpenCL C
    .language_version:
      - 2
      - 0
    .max_flat_workgroup_size: 256
    .name:           fft_rtc_back_len3072_factors_6_4_4_4_4_2_wgs_256_tpt_256_halfLds_half_op_CI_CI_unitstride_sbrr_R2C_dirReg
    .private_segment_fixed_size: 0
    .sgpr_count:     34
    .sgpr_spill_count: 0
    .symbol:         fft_rtc_back_len3072_factors_6_4_4_4_4_2_wgs_256_tpt_256_halfLds_half_op_CI_CI_unitstride_sbrr_R2C_dirReg.kd
    .uniform_work_group_size: 1
    .uses_dynamic_stack: false
    .vgpr_count:     59
    .vgpr_spill_count: 0
    .wavefront_size: 64
amdhsa.target:   amdgcn-amd-amdhsa--gfx950
amdhsa.version:
  - 1
  - 2
...

	.end_amdgpu_metadata
